;; amdgpu-corpus repo=ROCm/rocFFT kind=compiled arch=gfx1100 opt=O3
	.text
	.amdgcn_target "amdgcn-amd-amdhsa--gfx1100"
	.amdhsa_code_object_version 6
	.protected	fft_rtc_back_len624_factors_13_4_6_2_wgs_52_tpt_52_dp_op_CI_CI_unitstride_sbrr_C2R_dirReg ; -- Begin function fft_rtc_back_len624_factors_13_4_6_2_wgs_52_tpt_52_dp_op_CI_CI_unitstride_sbrr_C2R_dirReg
	.globl	fft_rtc_back_len624_factors_13_4_6_2_wgs_52_tpt_52_dp_op_CI_CI_unitstride_sbrr_C2R_dirReg
	.p2align	8
	.type	fft_rtc_back_len624_factors_13_4_6_2_wgs_52_tpt_52_dp_op_CI_CI_unitstride_sbrr_C2R_dirReg,@function
fft_rtc_back_len624_factors_13_4_6_2_wgs_52_tpt_52_dp_op_CI_CI_unitstride_sbrr_C2R_dirReg: ; @fft_rtc_back_len624_factors_13_4_6_2_wgs_52_tpt_52_dp_op_CI_CI_unitstride_sbrr_C2R_dirReg
; %bb.0:
	s_clause 0x2
	s_load_b128 s[8:11], s[0:1], 0x0
	s_load_b128 s[4:7], s[0:1], 0x58
	;; [unrolled: 1-line block ×3, first 2 shown]
	v_mul_u32_u24_e32 v1, 0x4ed, v0
	v_mov_b32_e32 v3, 0
	s_delay_alu instid0(VALU_DEP_2) | instskip(NEXT) | instid1(VALU_DEP_1)
	v_lshrrev_b32_e32 v1, 16, v1
	v_add_nc_u32_e32 v5, s15, v1
	v_mov_b32_e32 v1, 0
	v_mov_b32_e32 v2, 0
	;; [unrolled: 1-line block ×3, first 2 shown]
	s_waitcnt lgkmcnt(0)
	v_cmp_lt_u64_e64 s2, s[10:11], 2
	s_delay_alu instid0(VALU_DEP_1)
	s_and_b32 vcc_lo, exec_lo, s2
	s_cbranch_vccnz .LBB0_8
; %bb.1:
	s_load_b64 s[2:3], s[0:1], 0x10
	v_mov_b32_e32 v1, 0
	v_mov_b32_e32 v2, 0
	s_add_u32 s12, s18, 8
	s_addc_u32 s13, s19, 0
	s_add_u32 s14, s16, 8
	s_addc_u32 s15, s17, 0
	v_dual_mov_b32 v53, v2 :: v_dual_mov_b32 v52, v1
	s_mov_b64 s[22:23], 1
	s_waitcnt lgkmcnt(0)
	s_add_u32 s20, s2, 8
	s_addc_u32 s21, s3, 0
.LBB0_2:                                ; =>This Inner Loop Header: Depth=1
	s_load_b64 s[24:25], s[20:21], 0x0
                                        ; implicit-def: $vgpr56_vgpr57
	s_mov_b32 s2, exec_lo
	s_waitcnt lgkmcnt(0)
	v_or_b32_e32 v4, s25, v6
	s_delay_alu instid0(VALU_DEP_1)
	v_cmpx_ne_u64_e32 0, v[3:4]
	s_xor_b32 s3, exec_lo, s2
	s_cbranch_execz .LBB0_4
; %bb.3:                                ;   in Loop: Header=BB0_2 Depth=1
	v_cvt_f32_u32_e32 v4, s24
	v_cvt_f32_u32_e32 v7, s25
	s_sub_u32 s2, 0, s24
	s_subb_u32 s26, 0, s25
	s_delay_alu instid0(VALU_DEP_1) | instskip(NEXT) | instid1(VALU_DEP_1)
	v_fmac_f32_e32 v4, 0x4f800000, v7
	v_rcp_f32_e32 v4, v4
	s_waitcnt_depctr 0xfff
	v_mul_f32_e32 v4, 0x5f7ffffc, v4
	s_delay_alu instid0(VALU_DEP_1) | instskip(NEXT) | instid1(VALU_DEP_1)
	v_mul_f32_e32 v7, 0x2f800000, v4
	v_trunc_f32_e32 v7, v7
	s_delay_alu instid0(VALU_DEP_1) | instskip(SKIP_1) | instid1(VALU_DEP_2)
	v_fmac_f32_e32 v4, 0xcf800000, v7
	v_cvt_u32_f32_e32 v7, v7
	v_cvt_u32_f32_e32 v4, v4
	s_delay_alu instid0(VALU_DEP_2) | instskip(NEXT) | instid1(VALU_DEP_2)
	v_mul_lo_u32 v8, s2, v7
	v_mul_hi_u32 v9, s2, v4
	v_mul_lo_u32 v10, s26, v4
	s_delay_alu instid0(VALU_DEP_2) | instskip(SKIP_1) | instid1(VALU_DEP_2)
	v_add_nc_u32_e32 v8, v9, v8
	v_mul_lo_u32 v9, s2, v4
	v_add_nc_u32_e32 v8, v8, v10
	s_delay_alu instid0(VALU_DEP_2) | instskip(NEXT) | instid1(VALU_DEP_2)
	v_mul_hi_u32 v10, v4, v9
	v_mul_lo_u32 v11, v4, v8
	v_mul_hi_u32 v12, v4, v8
	v_mul_hi_u32 v13, v7, v9
	v_mul_lo_u32 v9, v7, v9
	v_mul_hi_u32 v14, v7, v8
	v_mul_lo_u32 v8, v7, v8
	v_add_co_u32 v10, vcc_lo, v10, v11
	v_add_co_ci_u32_e32 v11, vcc_lo, 0, v12, vcc_lo
	s_delay_alu instid0(VALU_DEP_2) | instskip(NEXT) | instid1(VALU_DEP_2)
	v_add_co_u32 v9, vcc_lo, v10, v9
	v_add_co_ci_u32_e32 v9, vcc_lo, v11, v13, vcc_lo
	v_add_co_ci_u32_e32 v10, vcc_lo, 0, v14, vcc_lo
	s_delay_alu instid0(VALU_DEP_2) | instskip(NEXT) | instid1(VALU_DEP_2)
	v_add_co_u32 v8, vcc_lo, v9, v8
	v_add_co_ci_u32_e32 v9, vcc_lo, 0, v10, vcc_lo
	s_delay_alu instid0(VALU_DEP_2) | instskip(NEXT) | instid1(VALU_DEP_2)
	v_add_co_u32 v4, vcc_lo, v4, v8
	v_add_co_ci_u32_e32 v7, vcc_lo, v7, v9, vcc_lo
	s_delay_alu instid0(VALU_DEP_2) | instskip(SKIP_1) | instid1(VALU_DEP_3)
	v_mul_hi_u32 v8, s2, v4
	v_mul_lo_u32 v10, s26, v4
	v_mul_lo_u32 v9, s2, v7
	s_delay_alu instid0(VALU_DEP_1) | instskip(SKIP_1) | instid1(VALU_DEP_2)
	v_add_nc_u32_e32 v8, v8, v9
	v_mul_lo_u32 v9, s2, v4
	v_add_nc_u32_e32 v8, v8, v10
	s_delay_alu instid0(VALU_DEP_2) | instskip(NEXT) | instid1(VALU_DEP_2)
	v_mul_hi_u32 v10, v4, v9
	v_mul_lo_u32 v11, v4, v8
	v_mul_hi_u32 v12, v4, v8
	v_mul_hi_u32 v13, v7, v9
	v_mul_lo_u32 v9, v7, v9
	v_mul_hi_u32 v14, v7, v8
	v_mul_lo_u32 v8, v7, v8
	v_add_co_u32 v10, vcc_lo, v10, v11
	v_add_co_ci_u32_e32 v11, vcc_lo, 0, v12, vcc_lo
	s_delay_alu instid0(VALU_DEP_2) | instskip(NEXT) | instid1(VALU_DEP_2)
	v_add_co_u32 v9, vcc_lo, v10, v9
	v_add_co_ci_u32_e32 v9, vcc_lo, v11, v13, vcc_lo
	v_add_co_ci_u32_e32 v10, vcc_lo, 0, v14, vcc_lo
	s_delay_alu instid0(VALU_DEP_2) | instskip(NEXT) | instid1(VALU_DEP_2)
	v_add_co_u32 v8, vcc_lo, v9, v8
	v_add_co_ci_u32_e32 v9, vcc_lo, 0, v10, vcc_lo
	s_delay_alu instid0(VALU_DEP_2) | instskip(NEXT) | instid1(VALU_DEP_2)
	v_add_co_u32 v4, vcc_lo, v4, v8
	v_add_co_ci_u32_e32 v13, vcc_lo, v7, v9, vcc_lo
	s_delay_alu instid0(VALU_DEP_2) | instskip(SKIP_1) | instid1(VALU_DEP_3)
	v_mul_hi_u32 v14, v5, v4
	v_mad_u64_u32 v[9:10], null, v6, v4, 0
	v_mad_u64_u32 v[7:8], null, v5, v13, 0
	;; [unrolled: 1-line block ×3, first 2 shown]
	s_delay_alu instid0(VALU_DEP_2) | instskip(NEXT) | instid1(VALU_DEP_3)
	v_add_co_u32 v4, vcc_lo, v14, v7
	v_add_co_ci_u32_e32 v7, vcc_lo, 0, v8, vcc_lo
	s_delay_alu instid0(VALU_DEP_2) | instskip(NEXT) | instid1(VALU_DEP_2)
	v_add_co_u32 v4, vcc_lo, v4, v9
	v_add_co_ci_u32_e32 v4, vcc_lo, v7, v10, vcc_lo
	v_add_co_ci_u32_e32 v7, vcc_lo, 0, v12, vcc_lo
	s_delay_alu instid0(VALU_DEP_2) | instskip(NEXT) | instid1(VALU_DEP_2)
	v_add_co_u32 v4, vcc_lo, v4, v11
	v_add_co_ci_u32_e32 v9, vcc_lo, 0, v7, vcc_lo
	s_delay_alu instid0(VALU_DEP_2) | instskip(SKIP_1) | instid1(VALU_DEP_3)
	v_mul_lo_u32 v10, s25, v4
	v_mad_u64_u32 v[7:8], null, s24, v4, 0
	v_mul_lo_u32 v11, s24, v9
	s_delay_alu instid0(VALU_DEP_2) | instskip(NEXT) | instid1(VALU_DEP_2)
	v_sub_co_u32 v7, vcc_lo, v5, v7
	v_add3_u32 v8, v8, v11, v10
	s_delay_alu instid0(VALU_DEP_1) | instskip(NEXT) | instid1(VALU_DEP_1)
	v_sub_nc_u32_e32 v10, v6, v8
	v_subrev_co_ci_u32_e64 v10, s2, s25, v10, vcc_lo
	v_add_co_u32 v11, s2, v4, 2
	s_delay_alu instid0(VALU_DEP_1) | instskip(SKIP_3) | instid1(VALU_DEP_3)
	v_add_co_ci_u32_e64 v12, s2, 0, v9, s2
	v_sub_co_u32 v13, s2, v7, s24
	v_sub_co_ci_u32_e32 v8, vcc_lo, v6, v8, vcc_lo
	v_subrev_co_ci_u32_e64 v10, s2, 0, v10, s2
	v_cmp_le_u32_e32 vcc_lo, s24, v13
	s_delay_alu instid0(VALU_DEP_3) | instskip(SKIP_1) | instid1(VALU_DEP_4)
	v_cmp_eq_u32_e64 s2, s25, v8
	v_cndmask_b32_e64 v13, 0, -1, vcc_lo
	v_cmp_le_u32_e32 vcc_lo, s25, v10
	v_cndmask_b32_e64 v14, 0, -1, vcc_lo
	v_cmp_le_u32_e32 vcc_lo, s24, v7
	;; [unrolled: 2-line block ×3, first 2 shown]
	v_cndmask_b32_e64 v15, 0, -1, vcc_lo
	v_cmp_eq_u32_e32 vcc_lo, s25, v10
	s_delay_alu instid0(VALU_DEP_2) | instskip(SKIP_3) | instid1(VALU_DEP_3)
	v_cndmask_b32_e64 v7, v15, v7, s2
	v_cndmask_b32_e32 v10, v14, v13, vcc_lo
	v_add_co_u32 v13, vcc_lo, v4, 1
	v_add_co_ci_u32_e32 v14, vcc_lo, 0, v9, vcc_lo
	v_cmp_ne_u32_e32 vcc_lo, 0, v10
	s_delay_alu instid0(VALU_DEP_2) | instskip(NEXT) | instid1(VALU_DEP_4)
	v_cndmask_b32_e32 v8, v14, v12, vcc_lo
	v_cndmask_b32_e32 v10, v13, v11, vcc_lo
	v_cmp_ne_u32_e32 vcc_lo, 0, v7
	s_delay_alu instid0(VALU_DEP_2)
	v_dual_cndmask_b32 v57, v9, v8 :: v_dual_cndmask_b32 v56, v4, v10
.LBB0_4:                                ;   in Loop: Header=BB0_2 Depth=1
	s_and_not1_saveexec_b32 s2, s3
	s_cbranch_execz .LBB0_6
; %bb.5:                                ;   in Loop: Header=BB0_2 Depth=1
	v_cvt_f32_u32_e32 v4, s24
	s_sub_i32 s3, 0, s24
	v_mov_b32_e32 v57, v3
	s_delay_alu instid0(VALU_DEP_2) | instskip(SKIP_2) | instid1(VALU_DEP_1)
	v_rcp_iflag_f32_e32 v4, v4
	s_waitcnt_depctr 0xfff
	v_mul_f32_e32 v4, 0x4f7ffffe, v4
	v_cvt_u32_f32_e32 v4, v4
	s_delay_alu instid0(VALU_DEP_1) | instskip(NEXT) | instid1(VALU_DEP_1)
	v_mul_lo_u32 v7, s3, v4
	v_mul_hi_u32 v7, v4, v7
	s_delay_alu instid0(VALU_DEP_1) | instskip(NEXT) | instid1(VALU_DEP_1)
	v_add_nc_u32_e32 v4, v4, v7
	v_mul_hi_u32 v4, v5, v4
	s_delay_alu instid0(VALU_DEP_1) | instskip(SKIP_1) | instid1(VALU_DEP_2)
	v_mul_lo_u32 v7, v4, s24
	v_add_nc_u32_e32 v8, 1, v4
	v_sub_nc_u32_e32 v7, v5, v7
	s_delay_alu instid0(VALU_DEP_1) | instskip(SKIP_1) | instid1(VALU_DEP_2)
	v_subrev_nc_u32_e32 v9, s24, v7
	v_cmp_le_u32_e32 vcc_lo, s24, v7
	v_dual_cndmask_b32 v7, v7, v9 :: v_dual_cndmask_b32 v4, v4, v8
	s_delay_alu instid0(VALU_DEP_1) | instskip(NEXT) | instid1(VALU_DEP_2)
	v_cmp_le_u32_e32 vcc_lo, s24, v7
	v_add_nc_u32_e32 v8, 1, v4
	s_delay_alu instid0(VALU_DEP_1)
	v_cndmask_b32_e32 v56, v4, v8, vcc_lo
.LBB0_6:                                ;   in Loop: Header=BB0_2 Depth=1
	s_or_b32 exec_lo, exec_lo, s2
	s_delay_alu instid0(VALU_DEP_1) | instskip(NEXT) | instid1(VALU_DEP_2)
	v_mul_lo_u32 v4, v57, s24
	v_mul_lo_u32 v9, v56, s25
	s_load_b64 s[2:3], s[14:15], 0x0
	v_mad_u64_u32 v[7:8], null, v56, s24, 0
	s_load_b64 s[24:25], s[12:13], 0x0
	s_add_u32 s22, s22, 1
	s_addc_u32 s23, s23, 0
	s_add_u32 s12, s12, 8
	s_addc_u32 s13, s13, 0
	s_add_u32 s14, s14, 8
	s_delay_alu instid0(VALU_DEP_1) | instskip(SKIP_3) | instid1(VALU_DEP_2)
	v_add3_u32 v4, v8, v9, v4
	v_sub_co_u32 v8, vcc_lo, v5, v7
	s_addc_u32 s15, s15, 0
	s_add_u32 s20, s20, 8
	v_sub_co_ci_u32_e32 v6, vcc_lo, v6, v4, vcc_lo
	s_addc_u32 s21, s21, 0
	s_waitcnt lgkmcnt(0)
	s_delay_alu instid0(VALU_DEP_1)
	v_mul_lo_u32 v9, s2, v6
	v_mul_lo_u32 v10, s3, v8
	v_mad_u64_u32 v[4:5], null, s2, v8, v[1:2]
	v_mul_lo_u32 v11, s24, v6
	v_mul_lo_u32 v12, s25, v8
	v_mad_u64_u32 v[6:7], null, s24, v8, v[52:53]
	v_cmp_ge_u64_e64 s2, s[22:23], s[10:11]
	v_add3_u32 v2, v10, v5, v9
	s_delay_alu instid0(VALU_DEP_3) | instskip(NEXT) | instid1(VALU_DEP_4)
	v_dual_mov_b32 v1, v4 :: v_dual_mov_b32 v52, v6
	v_add3_u32 v53, v12, v7, v11
	s_delay_alu instid0(VALU_DEP_4)
	s_and_b32 vcc_lo, exec_lo, s2
	s_cbranch_vccnz .LBB0_9
; %bb.7:                                ;   in Loop: Header=BB0_2 Depth=1
	v_dual_mov_b32 v5, v56 :: v_dual_mov_b32 v6, v57
	s_branch .LBB0_2
.LBB0_8:
	v_dual_mov_b32 v53, v2 :: v_dual_mov_b32 v52, v1
	v_dual_mov_b32 v57, v6 :: v_dual_mov_b32 v56, v5
.LBB0_9:
	s_load_b64 s[0:1], s[0:1], 0x28
	v_mul_hi_u32 v3, 0x4ec4ec5, v0
	s_lshl_b64 s[10:11], s[10:11], 3
                                        ; implicit-def: $vgpr54
                                        ; implicit-def: $vgpr4_vgpr5
	s_delay_alu instid0(SALU_CYCLE_1) | instskip(SKIP_4) | instid1(VALU_DEP_1)
	s_add_u32 s2, s18, s10
	s_addc_u32 s3, s19, s11
	s_waitcnt lgkmcnt(0)
	v_cmp_gt_u64_e32 vcc_lo, s[0:1], v[56:57]
	v_cmp_le_u64_e64 s0, s[0:1], v[56:57]
	s_and_saveexec_b32 s1, s0
	s_delay_alu instid0(SALU_CYCLE_1)
	s_xor_b32 s0, exec_lo, s1
; %bb.10:
	v_mul_u32_u24_e32 v1, 52, v3
	v_mov_b32_e32 v55, 0
                                        ; implicit-def: $vgpr3
	s_delay_alu instid0(VALU_DEP_2) | instskip(NEXT) | instid1(VALU_DEP_1)
	v_sub_nc_u32_e32 v54, v0, v1
                                        ; implicit-def: $vgpr0
                                        ; implicit-def: $vgpr1_vgpr2
	v_dual_mov_b32 v4, v54 :: v_dual_mov_b32 v5, v55
; %bb.11:
	s_or_saveexec_b32 s1, s0
	s_load_b64 s[2:3], s[2:3], 0x0
	s_xor_b32 exec_lo, exec_lo, s1
	s_cbranch_execz .LBB0_15
; %bb.12:
	s_add_u32 s10, s16, s10
	s_addc_u32 s11, s17, s11
	v_lshlrev_b64 v[1:2], 4, v[1:2]
	s_load_b64 s[10:11], s[10:11], 0x0
	v_mov_b32_e32 v55, 0
	s_waitcnt lgkmcnt(0)
	v_mul_lo_u32 v6, s11, v56
	v_mul_lo_u32 v7, s10, v57
	v_mad_u64_u32 v[4:5], null, s10, v56, 0
	s_delay_alu instid0(VALU_DEP_1) | instskip(SKIP_1) | instid1(VALU_DEP_2)
	v_add3_u32 v5, v5, v7, v6
	v_mul_u32_u24_e32 v6, 52, v3
	v_lshlrev_b64 v[3:4], 4, v[4:5]
	s_delay_alu instid0(VALU_DEP_2) | instskip(NEXT) | instid1(VALU_DEP_1)
	v_sub_nc_u32_e32 v54, v0, v6
	v_lshlrev_b32_e32 v62, 4, v54
	s_delay_alu instid0(VALU_DEP_3) | instskip(NEXT) | instid1(VALU_DEP_1)
	v_add_co_u32 v0, s0, s4, v3
	v_add_co_ci_u32_e64 v3, s0, s5, v4, s0
	s_mov_b32 s4, exec_lo
	s_delay_alu instid0(VALU_DEP_2) | instskip(NEXT) | instid1(VALU_DEP_1)
	v_add_co_u32 v0, s0, v0, v1
	v_add_co_ci_u32_e64 v1, s0, v3, v2, s0
	s_delay_alu instid0(VALU_DEP_2) | instskip(NEXT) | instid1(VALU_DEP_1)
	v_add_co_u32 v2, s0, v0, v62
	v_add_co_ci_u32_e64 v3, s0, 0, v1, s0
	s_clause 0x3
	global_load_b128 v[6:9], v[2:3], off
	global_load_b128 v[10:13], v[2:3], off offset:832
	global_load_b128 v[14:17], v[2:3], off offset:1664
	;; [unrolled: 1-line block ×3, first 2 shown]
	v_add_co_u32 v4, s0, 0x1000, v2
	s_delay_alu instid0(VALU_DEP_1) | instskip(SKIP_1) | instid1(VALU_DEP_1)
	v_add_co_ci_u32_e64 v5, s0, 0, v3, s0
	v_add_co_u32 v50, s0, 0x2000, v2
	v_add_co_ci_u32_e64 v51, s0, 0, v3, s0
	s_clause 0x7
	global_load_b128 v[22:25], v[2:3], off offset:3328
	global_load_b128 v[26:29], v[4:5], off offset:64
	;; [unrolled: 1-line block ×8, first 2 shown]
	v_mov_b32_e32 v4, v54
	v_dual_mov_b32 v5, v55 :: v_dual_add_nc_u32 v2, 0, v62
	s_waitcnt vmcnt(11)
	ds_store_b128 v2, v[6:9]
	s_waitcnt vmcnt(10)
	ds_store_b128 v2, v[10:13] offset:832
	s_waitcnt vmcnt(9)
	ds_store_b128 v2, v[14:17] offset:1664
	s_waitcnt vmcnt(8)
	ds_store_b128 v2, v[18:21] offset:2496
	s_waitcnt vmcnt(7)
	ds_store_b128 v2, v[22:25] offset:3328
	s_waitcnt vmcnt(6)
	ds_store_b128 v2, v[26:29] offset:4160
	s_waitcnt vmcnt(5)
	ds_store_b128 v2, v[30:33] offset:4992
	s_waitcnt vmcnt(4)
	ds_store_b128 v2, v[34:37] offset:5824
	s_waitcnt vmcnt(3)
	ds_store_b128 v2, v[38:41] offset:6656
	s_waitcnt vmcnt(2)
	ds_store_b128 v2, v[42:45] offset:7488
	s_waitcnt vmcnt(1)
	ds_store_b128 v2, v[46:49] offset:8320
	s_waitcnt vmcnt(0)
	ds_store_b128 v2, v[58:61] offset:9152
	v_cmpx_eq_u32_e32 51, v54
	s_cbranch_execz .LBB0_14
; %bb.13:
	v_add_co_u32 v0, s0, 0x2000, v0
	s_delay_alu instid0(VALU_DEP_1)
	v_add_co_ci_u32_e64 v1, s0, 0, v1, s0
	v_mov_b32_e32 v4, 51
	v_dual_mov_b32 v5, 0 :: v_dual_mov_b32 v54, 51
	global_load_b128 v[0:3], v[0:1], off offset:1792
	s_waitcnt vmcnt(0)
	ds_store_b128 v55, v[0:3] offset:9984
.LBB0_14:
	s_or_b32 exec_lo, exec_lo, s4
.LBB0_15:
	s_delay_alu instid0(SALU_CYCLE_1)
	s_or_b32 exec_lo, exec_lo, s1
	v_lshlrev_b32_e32 v0, 4, v54
	s_waitcnt lgkmcnt(0)
	s_barrier
	buffer_gl0_inv
	v_lshlrev_b64 v[58:59], 4, v[4:5]
	v_add_nc_u32_e32 v86, 0, v0
	v_sub_nc_u32_e32 v10, 0, v0
	s_add_u32 s1, s8, 0x2630
	s_addc_u32 s4, s9, 0
	s_mov_b32 s5, exec_lo
	ds_load_b64 v[6:7], v86
	ds_load_b64 v[8:9], v10 offset:9984
	s_waitcnt lgkmcnt(0)
	v_add_f64 v[0:1], v[6:7], v[8:9]
	v_add_f64 v[2:3], v[6:7], -v[8:9]
	v_cmpx_ne_u32_e32 0, v54
	s_xor_b32 s5, exec_lo, s5
	s_cbranch_execz .LBB0_17
; %bb.16:
	v_add_co_u32 v0, s0, s1, v58
	s_delay_alu instid0(VALU_DEP_1)
	v_add_co_ci_u32_e64 v1, s0, s4, v59, s0
	v_add_f64 v[13:14], v[6:7], v[8:9]
	v_add_f64 v[8:9], v[6:7], -v[8:9]
	global_load_b128 v[2:5], v[0:1], off
	ds_load_b64 v[0:1], v10 offset:9992
	ds_load_b64 v[11:12], v86 offset:8
	s_waitcnt lgkmcnt(0)
	v_add_f64 v[6:7], v[0:1], v[11:12]
	v_add_f64 v[0:1], v[11:12], -v[0:1]
	s_waitcnt vmcnt(0)
	v_fma_f64 v[11:12], v[8:9], v[4:5], v[13:14]
	v_fma_f64 v[13:14], -v[8:9], v[4:5], v[13:14]
	s_delay_alu instid0(VALU_DEP_3) | instskip(SKIP_1) | instid1(VALU_DEP_4)
	v_fma_f64 v[15:16], v[6:7], v[4:5], -v[0:1]
	v_fma_f64 v[17:18], v[6:7], v[4:5], v[0:1]
	v_fma_f64 v[0:1], -v[6:7], v[2:3], v[11:12]
	s_delay_alu instid0(VALU_DEP_4) | instskip(NEXT) | instid1(VALU_DEP_4)
	v_fma_f64 v[4:5], v[6:7], v[2:3], v[13:14]
	v_fma_f64 v[6:7], v[8:9], v[2:3], v[15:16]
	s_delay_alu instid0(VALU_DEP_4)
	v_fma_f64 v[2:3], v[8:9], v[2:3], v[17:18]
	ds_store_b128 v10, v[4:7] offset:9984
.LBB0_17:
	s_and_not1_saveexec_b32 s0, s5
	s_cbranch_execz .LBB0_19
; %bb.18:
	v_mov_b32_e32 v8, 0
	ds_load_b128 v[4:7], v8 offset:4992
	s_waitcnt lgkmcnt(0)
	v_add_f64 v[4:5], v[4:5], v[4:5]
	v_mul_f64 v[6:7], v[6:7], -2.0
	ds_store_b128 v8, v[4:7] offset:4992
.LBB0_19:
	s_or_b32 exec_lo, exec_lo, s0
	v_mov_b32_e32 v55, 0
	s_mov_b32 s33, exec_lo
	s_delay_alu instid0(VALU_DEP_1) | instskip(NEXT) | instid1(VALU_DEP_1)
	v_lshlrev_b64 v[60:61], 4, v[54:55]
	v_add_co_u32 v23, s0, s1, v60
	s_delay_alu instid0(VALU_DEP_1)
	v_add_co_ci_u32_e64 v24, s0, s4, v61, s0
	s_clause 0x1
	global_load_b128 v[4:7], v[23:24], off offset:832
	global_load_b128 v[11:14], v[23:24], off offset:1664
	ds_store_b128 v86, v[0:3]
	ds_load_b128 v[0:3], v86 offset:832
	ds_load_b128 v[15:18], v10 offset:9152
	global_load_b128 v[19:22], v[23:24], off offset:2496
	s_waitcnt lgkmcnt(0)
	v_add_f64 v[8:9], v[0:1], v[15:16]
	v_add_f64 v[25:26], v[17:18], v[2:3]
	v_add_f64 v[15:16], v[0:1], -v[15:16]
	v_add_f64 v[0:1], v[2:3], -v[17:18]
	s_waitcnt vmcnt(2)
	s_delay_alu instid0(VALU_DEP_2) | instskip(NEXT) | instid1(VALU_DEP_2)
	v_fma_f64 v[2:3], v[15:16], v[6:7], v[8:9]
	v_fma_f64 v[17:18], v[25:26], v[6:7], v[0:1]
	v_fma_f64 v[8:9], -v[15:16], v[6:7], v[8:9]
	v_fma_f64 v[27:28], v[25:26], v[6:7], -v[0:1]
	s_delay_alu instid0(VALU_DEP_4) | instskip(NEXT) | instid1(VALU_DEP_4)
	v_fma_f64 v[0:1], -v[25:26], v[4:5], v[2:3]
	v_fma_f64 v[2:3], v[15:16], v[4:5], v[17:18]
	s_delay_alu instid0(VALU_DEP_4) | instskip(NEXT) | instid1(VALU_DEP_4)
	v_fma_f64 v[6:7], v[25:26], v[4:5], v[8:9]
	v_fma_f64 v[8:9], v[15:16], v[4:5], v[27:28]
	ds_store_b128 v86, v[0:3] offset:832
	ds_store_b128 v10, v[6:9] offset:9152
	ds_load_b128 v[0:3], v86 offset:1664
	ds_load_b128 v[4:7], v10 offset:8320
	global_load_b128 v[15:18], v[23:24], off offset:3328
	s_waitcnt lgkmcnt(0)
	v_add_f64 v[8:9], v[0:1], v[4:5]
	v_add_f64 v[25:26], v[6:7], v[2:3]
	v_add_f64 v[27:28], v[0:1], -v[4:5]
	v_add_f64 v[0:1], v[2:3], -v[6:7]
	s_waitcnt vmcnt(2)
	s_delay_alu instid0(VALU_DEP_2) | instskip(NEXT) | instid1(VALU_DEP_2)
	v_fma_f64 v[2:3], v[27:28], v[13:14], v[8:9]
	v_fma_f64 v[4:5], v[25:26], v[13:14], v[0:1]
	v_fma_f64 v[6:7], -v[27:28], v[13:14], v[8:9]
	v_fma_f64 v[8:9], v[25:26], v[13:14], -v[0:1]
	s_delay_alu instid0(VALU_DEP_4) | instskip(NEXT) | instid1(VALU_DEP_4)
	v_fma_f64 v[0:1], -v[25:26], v[11:12], v[2:3]
	v_fma_f64 v[2:3], v[27:28], v[11:12], v[4:5]
	s_delay_alu instid0(VALU_DEP_4) | instskip(NEXT) | instid1(VALU_DEP_4)
	v_fma_f64 v[4:5], v[25:26], v[11:12], v[6:7]
	v_fma_f64 v[6:7], v[27:28], v[11:12], v[8:9]
	v_add_co_u32 v8, s0, 0x1000, v23
	s_delay_alu instid0(VALU_DEP_1)
	v_add_co_ci_u32_e64 v9, s0, 0, v24, s0
	ds_store_b128 v86, v[0:3] offset:1664
	ds_store_b128 v10, v[4:7] offset:8320
	ds_load_b128 v[0:3], v86 offset:2496
	ds_load_b128 v[4:7], v10 offset:7488
	global_load_b128 v[11:14], v[8:9], off offset:64
	s_waitcnt lgkmcnt(0)
	v_add_f64 v[8:9], v[0:1], v[4:5]
	v_add_f64 v[23:24], v[6:7], v[2:3]
	v_add_f64 v[25:26], v[0:1], -v[4:5]
	v_add_f64 v[0:1], v[2:3], -v[6:7]
	s_waitcnt vmcnt(2)
	s_delay_alu instid0(VALU_DEP_2) | instskip(NEXT) | instid1(VALU_DEP_2)
	v_fma_f64 v[2:3], v[25:26], v[21:22], v[8:9]
	v_fma_f64 v[4:5], v[23:24], v[21:22], v[0:1]
	v_fma_f64 v[6:7], -v[25:26], v[21:22], v[8:9]
	v_fma_f64 v[8:9], v[23:24], v[21:22], -v[0:1]
	s_delay_alu instid0(VALU_DEP_4) | instskip(NEXT) | instid1(VALU_DEP_4)
	v_fma_f64 v[0:1], -v[23:24], v[19:20], v[2:3]
	v_fma_f64 v[2:3], v[25:26], v[19:20], v[4:5]
	s_delay_alu instid0(VALU_DEP_4) | instskip(NEXT) | instid1(VALU_DEP_4)
	v_fma_f64 v[4:5], v[23:24], v[19:20], v[6:7]
	v_fma_f64 v[6:7], v[25:26], v[19:20], v[8:9]
	ds_store_b128 v86, v[0:3] offset:2496
	ds_store_b128 v10, v[4:7] offset:7488
	ds_load_b128 v[0:3], v86 offset:3328
	ds_load_b128 v[4:7], v10 offset:6656
	s_waitcnt lgkmcnt(0)
	v_add_f64 v[8:9], v[0:1], v[4:5]
	v_add_f64 v[19:20], v[6:7], v[2:3]
	v_add_f64 v[21:22], v[0:1], -v[4:5]
	v_add_f64 v[0:1], v[2:3], -v[6:7]
	s_waitcnt vmcnt(1)
	s_delay_alu instid0(VALU_DEP_2) | instskip(NEXT) | instid1(VALU_DEP_2)
	v_fma_f64 v[2:3], v[21:22], v[17:18], v[8:9]
	v_fma_f64 v[4:5], v[19:20], v[17:18], v[0:1]
	v_fma_f64 v[6:7], -v[21:22], v[17:18], v[8:9]
	v_fma_f64 v[8:9], v[19:20], v[17:18], -v[0:1]
	s_delay_alu instid0(VALU_DEP_4) | instskip(NEXT) | instid1(VALU_DEP_4)
	v_fma_f64 v[0:1], -v[19:20], v[15:16], v[2:3]
	v_fma_f64 v[2:3], v[21:22], v[15:16], v[4:5]
	s_delay_alu instid0(VALU_DEP_4) | instskip(NEXT) | instid1(VALU_DEP_4)
	v_fma_f64 v[4:5], v[19:20], v[15:16], v[6:7]
	v_fma_f64 v[6:7], v[21:22], v[15:16], v[8:9]
	ds_store_b128 v86, v[0:3] offset:3328
	ds_store_b128 v10, v[4:7] offset:6656
	ds_load_b128 v[0:3], v86 offset:4160
	ds_load_b128 v[4:7], v10 offset:5824
	s_waitcnt lgkmcnt(0)
	v_add_f64 v[8:9], v[0:1], v[4:5]
	v_add_f64 v[15:16], v[6:7], v[2:3]
	v_add_f64 v[17:18], v[0:1], -v[4:5]
	v_add_f64 v[0:1], v[2:3], -v[6:7]
	s_waitcnt vmcnt(0)
	s_delay_alu instid0(VALU_DEP_2) | instskip(NEXT) | instid1(VALU_DEP_2)
	v_fma_f64 v[2:3], v[17:18], v[13:14], v[8:9]
	v_fma_f64 v[4:5], v[15:16], v[13:14], v[0:1]
	v_fma_f64 v[6:7], -v[17:18], v[13:14], v[8:9]
	v_fma_f64 v[8:9], v[15:16], v[13:14], -v[0:1]
	s_delay_alu instid0(VALU_DEP_4) | instskip(NEXT) | instid1(VALU_DEP_4)
	v_fma_f64 v[0:1], -v[15:16], v[11:12], v[2:3]
	v_fma_f64 v[2:3], v[17:18], v[11:12], v[4:5]
	s_delay_alu instid0(VALU_DEP_4) | instskip(NEXT) | instid1(VALU_DEP_4)
	v_fma_f64 v[4:5], v[15:16], v[11:12], v[6:7]
	v_fma_f64 v[6:7], v[17:18], v[11:12], v[8:9]
	ds_store_b128 v86, v[0:3] offset:4160
	ds_store_b128 v10, v[4:7] offset:5824
	s_waitcnt lgkmcnt(0)
	s_barrier
	buffer_gl0_inv
	s_barrier
	buffer_gl0_inv
	ds_load_b128 v[16:19], v86
	ds_load_b128 v[48:51], v86 offset:768
	ds_load_b128 v[36:39], v86 offset:1536
	;; [unrolled: 1-line block ×12, first 2 shown]
	s_waitcnt lgkmcnt(0)
	s_barrier
	buffer_gl0_inv
	v_cmpx_gt_u32_e32 48, v54
	s_cbranch_execz .LBB0_21
; %bb.20:
	v_add_f64 v[62:63], v[18:19], v[50:51]
	v_add_f64 v[64:65], v[16:17], v[48:49]
	v_add_f64 v[87:88], v[36:37], -v[4:5]
	v_add_f64 v[84:85], v[38:39], -v[6:7]
	;; [unrolled: 1-line block ×10, first 2 shown]
	s_mov_b32 s35, 0x3fddbe06
	s_mov_b32 s34, 0x4267c47c
	;; [unrolled: 1-line block ×16, first 2 shown]
	v_add_f64 v[80:81], v[50:51], v[2:3]
	v_add_f64 v[82:83], v[48:49], v[0:1]
	;; [unrolled: 1-line block ×4, first 2 shown]
	s_mov_b32 s26, 0xebaa3ed8
	s_mov_b32 s20, 0xb2365da1
	s_mov_b32 s18, 0x1ea71119
	s_mov_b32 s14, 0xd0032e0c
	s_mov_b32 s12, 0x93053d00
	s_mov_b32 s16, 0xe00740e9
	v_add_f64 v[62:63], v[62:63], v[38:39]
	v_add_f64 v[64:65], v[64:65], v[36:37]
	v_mul_f64 v[99:100], v[87:88], s[34:35]
	v_mul_f64 v[101:102], v[84:85], s[34:35]
	;; [unrolled: 1-line block ×16, first 2 shown]
	s_mov_b32 s27, 0x3fbedb7d
	s_mov_b32 s21, 0xbfd6b1d8
	;; [unrolled: 1-line block ×10, first 2 shown]
	v_add_f64 v[38:39], v[38:39], v[6:7]
	v_add_f64 v[36:37], v[36:37], v[4:5]
	v_mul_f64 v[135:136], v[87:88], s[24:25]
	v_mul_f64 v[137:138], v[87:88], s[36:37]
	;; [unrolled: 1-line block ×8, first 2 shown]
	v_add_f64 v[70:71], v[62:63], v[42:43]
	v_add_f64 v[72:73], v[64:65], v[40:41]
	v_add_f64 v[64:65], v[28:29], -v[24:25]
	v_add_f64 v[62:63], v[30:31], -v[26:27]
	v_add_f64 v[42:43], v[42:43], v[10:11]
	v_mul_f64 v[149:150], v[84:85], s[22:23]
	v_mul_f64 v[84:85], v[84:85], s[28:29]
	;; [unrolled: 1-line block ×7, first 2 shown]
	v_fma_f64 v[159:160], v[80:81], s[12:13], v[103:104]
	v_fma_f64 v[103:104], v[80:81], s[12:13], -v[103:104]
	v_fma_f64 v[161:162], v[80:81], s[14:15], v[107:108]
	v_fma_f64 v[107:108], v[80:81], s[14:15], -v[107:108]
	v_fma_f64 v[163:164], v[80:81], s[20:21], v[111:112]
	v_fma_f64 v[111:112], v[80:81], s[20:21], -v[111:112]
	v_fma_f64 v[165:166], v[80:81], s[26:27], v[115:116]
	v_fma_f64 v[115:116], v[80:81], s[26:27], -v[115:116]
	v_fma_f64 v[167:168], v[82:83], s[14:15], -v[123:124]
	v_fma_f64 v[123:124], v[82:83], s[14:15], v[123:124]
	v_fma_f64 v[169:170], v[82:83], s[20:21], -v[127:128]
	v_fma_f64 v[127:128], v[82:83], s[20:21], v[127:128]
	;; [unrolled: 2-line block ×4, first 2 shown]
	v_add_f64 v[40:41], v[40:41], v[8:9]
	v_fma_f64 v[175:176], v[38:39], s[16:17], v[99:100]
	v_fma_f64 v[99:100], v[38:39], s[16:17], -v[99:100]
	v_fma_f64 v[177:178], v[38:39], s[26:27], v[135:136]
	v_fma_f64 v[135:136], v[38:39], s[26:27], -v[135:136]
	;; [unrolled: 2-line block ×4, first 2 shown]
	v_fma_f64 v[183:184], v[38:39], s[20:21], v[141:142]
	v_add_f64 v[95:96], v[70:71], v[46:47]
	v_add_f64 v[97:98], v[72:73], v[44:45]
	;; [unrolled: 1-line block ×4, first 2 shown]
	v_mul_f64 v[125:126], v[64:65], s[34:35]
	v_mul_f64 v[129:130], v[62:63], s[34:35]
	s_mov_b32 s35, 0xbfddbe06
	v_fma_f64 v[141:142], v[38:39], s[20:21], -v[141:142]
	v_fma_f64 v[185:186], v[38:39], s[18:19], v[87:88]
	v_fma_f64 v[38:39], v[38:39], s[18:19], -v[87:88]
	v_fma_f64 v[87:88], v[36:37], s[16:17], -v[101:102]
	v_fma_f64 v[101:102], v[36:37], s[16:17], v[101:102]
	v_fma_f64 v[187:188], v[36:37], s[26:27], -v[143:144]
	v_fma_f64 v[143:144], v[36:37], s[26:27], v[143:144]
	v_fma_f64 v[193:194], v[42:43], s[18:19], v[153:154]
	v_fma_f64 v[153:154], v[42:43], s[18:19], -v[153:154]
	v_add_f64 v[159:160], v[18:19], v[159:160]
	v_add_f64 v[103:104], v[18:19], v[103:104]
	;; [unrolled: 1-line block ×16, first 2 shown]
	v_mul_f64 v[195:196], v[78:79], s[28:29]
	v_mul_f64 v[197:198], v[78:79], s[38:39]
	;; [unrolled: 1-line block ×3, first 2 shown]
	v_add_f64 v[46:47], v[46:47], v[14:15]
	v_add_f64 v[44:45], v[44:45], v[12:13]
	v_fma_f64 v[205:206], v[40:41], s[16:17], -v[117:118]
	v_add_f64 v[34:35], v[95:96], v[34:35]
	v_add_f64 v[32:33], v[97:98], v[32:33]
	v_mul_f64 v[95:96], v[93:94], s[0:1]
	v_mul_f64 v[97:98], v[89:90], s[28:29]
	;; [unrolled: 1-line block ×4, first 2 shown]
	s_mov_b32 s35, 0x3fcea1e5
	s_mov_b32 s34, s0
	v_fma_f64 v[117:118], v[40:41], s[16:17], v[117:118]
	v_mad_u32_u24 v55, 0xc0, v54, v86
	v_add_f64 v[111:112], v[137:138], v[111:112]
	v_mul_f64 v[137:138], v[76:77], s[34:35]
	v_add_f64 v[115:116], v[139:140], v[115:116]
	v_mul_f64 v[139:140], v[68:69], s[22:23]
	v_fma_f64 v[203:204], v[40:41], s[18:19], -v[195:196]
	v_fma_f64 v[195:196], v[40:41], s[18:19], v[195:196]
	v_fma_f64 v[207:208], v[40:41], s[20:21], -v[197:198]
	v_fma_f64 v[197:198], v[40:41], s[20:21], v[197:198]
	;; [unrolled: 2-line block ×3, first 2 shown]
	v_add_f64 v[30:31], v[34:35], v[30:31]
	v_add_f64 v[28:29], v[32:33], v[28:29]
	v_fma_f64 v[32:33], v[82:83], s[12:13], -v[95:96]
	v_fma_f64 v[34:35], v[80:81], s[18:19], v[97:98]
	v_fma_f64 v[95:96], v[82:83], s[12:13], v[95:96]
	v_fma_f64 v[97:98], v[80:81], s[18:19], -v[97:98]
	v_fma_f64 v[189:190], v[80:81], s[16:17], v[89:90]
	v_fma_f64 v[191:192], v[82:83], s[16:17], -v[93:94]
	v_fma_f64 v[80:81], v[80:81], s[16:17], -v[89:90]
	v_fma_f64 v[82:83], v[82:83], s[16:17], v[93:94]
	v_fma_f64 v[89:90], v[36:37], s[14:15], -v[145:146]
	v_fma_f64 v[93:94], v[36:37], s[14:15], v[145:146]
	v_fma_f64 v[145:146], v[36:37], s[12:13], -v[147:148]
	v_fma_f64 v[147:148], v[36:37], s[12:13], v[147:148]
	v_add_f64 v[26:27], v[30:31], v[26:27]
	v_add_f64 v[24:25], v[28:29], v[24:25]
	v_fma_f64 v[28:29], v[36:37], s[20:21], -v[149:150]
	v_fma_f64 v[30:31], v[36:37], s[20:21], v[149:150]
	v_fma_f64 v[149:150], v[36:37], s[18:19], -v[84:85]
	v_fma_f64 v[36:37], v[36:37], s[18:19], v[84:85]
	v_fma_f64 v[84:85], v[42:43], s[14:15], v[151:152]
	v_fma_f64 v[151:152], v[42:43], s[14:15], -v[151:152]
	v_add_f64 v[32:33], v[16:17], v[32:33]
	v_add_f64 v[95:96], v[16:17], v[95:96]
	;; [unrolled: 1-line block ×8, first 2 shown]
	v_fma_f64 v[80:81], v[42:43], s[16:17], v[113:114]
	v_fma_f64 v[82:83], v[42:43], s[16:17], -v[113:114]
	v_fma_f64 v[113:114], v[42:43], s[20:21], v[155:156]
	v_fma_f64 v[155:156], v[42:43], s[20:21], -v[155:156]
	v_add_f64 v[93:94], v[93:94], v[127:128]
	v_mul_f64 v[127:128], v[74:75], s[34:35]
	v_add_f64 v[89:90], v[89:90], v[169:170]
	v_add_f64 v[145:146], v[145:146], v[171:172]
	;; [unrolled: 1-line block ×3, first 2 shown]
	v_mul_f64 v[147:148], v[76:77], s[36:37]
	v_mul_f64 v[171:172], v[68:69], s[28:29]
	v_add_f64 v[22:23], v[26:27], v[22:23]
	v_add_f64 v[20:21], v[24:25], v[20:21]
	v_fma_f64 v[24:25], v[42:43], s[12:13], v[157:158]
	v_fma_f64 v[26:27], v[42:43], s[12:13], -v[157:158]
	v_fma_f64 v[157:158], v[42:43], s[26:27], v[91:92]
	v_fma_f64 v[42:43], v[42:43], s[26:27], -v[91:92]
	v_mul_f64 v[91:92], v[78:79], s[4:5]
	v_mul_f64 v[78:79], v[78:79], s[30:31]
	v_add_f64 v[32:33], v[87:88], v[32:33]
	v_add_f64 v[87:88], v[99:100], v[103:104]
	;; [unrolled: 1-line block ×6, first 2 shown]
	v_mul_f64 v[135:136], v[76:77], s[10:11]
	v_mul_f64 v[143:144], v[74:75], s[10:11]
	v_add_f64 v[101:102], v[187:188], v[167:168]
	v_add_f64 v[123:124], v[179:180], v[163:164]
	v_mul_f64 v[161:162], v[76:77], s[30:31]
	v_mul_f64 v[163:164], v[74:75], s[30:31]
	v_add_f64 v[34:35], v[183:184], v[34:35]
	v_add_f64 v[28:29], v[28:29], v[173:174]
	;; [unrolled: 4-line block ×3, first 2 shown]
	v_add_f64 v[169:170], v[185:186], v[189:190]
	v_mul_f64 v[74:75], v[74:75], s[22:23]
	v_add_f64 v[149:150], v[149:150], v[191:192]
	v_add_f64 v[18:19], v[38:39], v[18:19]
	v_fma_f64 v[177:178], v[44:45], s[12:13], -v[127:128]
	v_add_f64 v[16:17], v[36:37], v[16:17]
	v_mul_f64 v[141:142], v[68:69], s[34:35]
	v_mul_f64 v[133:134], v[66:67], s[34:35]
	;; [unrolled: 1-line block ×4, first 2 shown]
	v_fma_f64 v[127:128], v[44:45], s[12:13], v[127:128]
	v_add_f64 v[89:90], v[205:206], v[89:90]
	v_add_f64 v[82:83], v[82:83], v[111:112]
	;; [unrolled: 1-line block ×3, first 2 shown]
	v_fma_f64 v[117:118], v[72:73], s[16:17], v[105:106]
	v_add_f64 v[145:146], v[207:208], v[145:146]
	v_add_f64 v[115:116], v[155:156], v[115:116]
	;; [unrolled: 1-line block ×3, first 2 shown]
	v_fma_f64 v[201:202], v[40:41], s[14:15], -v[91:92]
	v_fma_f64 v[91:92], v[40:41], s[14:15], v[91:92]
	v_fma_f64 v[211:212], v[40:41], s[26:27], -v[78:79]
	v_fma_f64 v[40:41], v[40:41], s[26:27], v[78:79]
	v_add_f64 v[78:79], v[175:176], v[159:160]
	v_add_f64 v[159:160], v[181:182], v[165:166]
	v_mul_f64 v[165:166], v[66:67], s[22:23]
	v_add_f64 v[87:88], v[151:152], v[87:88]
	v_fma_f64 v[175:176], v[46:47], s[18:19], v[135:136]
	v_fma_f64 v[151:152], v[44:45], s[18:19], -v[143:144]
	v_fma_f64 v[135:136], v[46:47], s[18:19], -v[135:136]
	v_fma_f64 v[143:144], v[44:45], s[18:19], v[143:144]
	v_add_f64 v[99:100], v[193:194], v[99:100]
	v_add_f64 v[101:102], v[203:204], v[101:102]
	v_fma_f64 v[36:37], v[46:47], s[26:27], v[161:162]
	v_fma_f64 v[179:180], v[44:45], s[26:27], -v[163:164]
	v_fma_f64 v[161:162], v[46:47], s[26:27], -v[161:162]
	v_fma_f64 v[163:164], v[44:45], s[26:27], v[163:164]
	v_add_f64 v[103:104], v[153:154], v[103:104]
	v_fma_f64 v[153:154], v[46:47], s[16:17], v[119:120]
	v_add_f64 v[107:108], v[195:196], v[107:108]
	v_fma_f64 v[181:182], v[44:45], s[16:17], -v[121:122]
	v_fma_f64 v[119:120], v[46:47], s[16:17], -v[119:120]
	v_fma_f64 v[121:122], v[44:45], s[16:17], v[121:122]
	v_add_f64 v[80:81], v[80:81], v[123:124]
	v_fma_f64 v[123:124], v[46:47], s[14:15], v[147:148]
	v_fma_f64 v[147:148], v[46:47], s[14:15], -v[147:148]
	v_fma_f64 v[185:186], v[46:47], s[20:21], v[76:77]
	v_add_f64 v[24:25], v[24:25], v[34:35]
	v_add_f64 v[14:15], v[22:23], v[14:15]
	;; [unrolled: 1-line block ×7, first 2 shown]
	v_fma_f64 v[183:184], v[72:73], s[20:21], v[139:140]
	v_fma_f64 v[139:140], v[72:73], s[20:21], -v[139:140]
	v_add_f64 v[18:19], v[42:43], v[18:19]
	v_add_f64 v[32:33], v[201:202], v[32:33]
	;; [unrolled: 1-line block ×3, first 2 shown]
	v_fma_f64 v[95:96], v[46:47], s[12:13], v[137:138]
	v_fma_f64 v[137:138], v[46:47], s[12:13], -v[137:138]
	v_add_f64 v[78:79], v[84:85], v[78:79]
	v_mul_f64 v[84:85], v[66:67], s[24:25]
	v_fma_f64 v[111:112], v[70:71], s[20:21], -v[165:166]
	v_add_f64 v[113:114], v[113:114], v[159:160]
	v_fma_f64 v[159:160], v[44:45], s[14:15], -v[167:168]
	v_fma_f64 v[167:168], v[44:45], s[14:15], v[167:168]
	v_fma_f64 v[46:47], v[46:47], s[20:21], -v[76:77]
	v_fma_f64 v[76:77], v[44:45], s[20:21], -v[74:75]
	v_fma_f64 v[44:45], v[44:45], s[20:21], v[74:75]
	v_fma_f64 v[74:75], v[70:71], s[16:17], -v[109:110]
	v_add_f64 v[42:43], v[177:178], v[101:102]
	v_mul_f64 v[30:31], v[68:69], s[4:5]
	v_mul_f64 v[66:67], v[66:67], s[4:5]
	v_add_f64 v[16:17], v[40:41], v[16:17]
	v_mul_f64 v[68:69], v[64:65], s[24:25]
	v_fma_f64 v[105:106], v[72:73], s[16:17], -v[105:106]
	v_add_f64 v[101:102], v[127:128], v[107:108]
	v_add_f64 v[82:83], v[161:162], v[82:83]
	;; [unrolled: 1-line block ×3, first 2 shown]
	v_fma_f64 v[115:116], v[70:71], s[12:13], v[133:134]
	v_add_f64 v[36:37], v[36:37], v[80:81]
	v_add_f64 v[80:81], v[179:180], v[89:90]
	v_add_f64 v[89:90], v[163:164], v[93:94]
	v_fma_f64 v[119:120], v[70:71], s[18:19], -v[173:174]
	v_add_f64 v[24:25], v[123:124], v[24:25]
	v_add_f64 v[10:11], v[14:15], v[10:11]
	;; [unrolled: 1-line block ×3, first 2 shown]
	v_fma_f64 v[123:124], v[70:71], s[18:19], v[173:174]
	v_add_f64 v[14:15], v[147:148], v[22:23]
	v_fma_f64 v[127:128], v[72:73], s[26:27], v[38:39]
	v_add_f64 v[22:23], v[185:186], v[28:29]
	v_fma_f64 v[28:29], v[70:71], s[12:13], -v[133:134]
	v_fma_f64 v[38:39], v[72:73], s[26:27], -v[38:39]
	v_mul_f64 v[97:98], v[64:65], s[22:23]
	v_add_f64 v[32:33], v[151:152], v[32:33]
	v_fma_f64 v[109:110], v[70:71], s[16:17], v[109:110]
	v_fma_f64 v[165:166], v[70:71], s[20:21], v[165:166]
	v_add_f64 v[40:41], v[137:138], v[103:104]
	v_add_f64 v[34:35], v[175:176], v[78:79]
	;; [unrolled: 1-line block ×6, first 2 shown]
	v_mul_f64 v[95:96], v[62:63], s[24:25]
	v_add_f64 v[93:94], v[153:154], v[113:114]
	v_add_f64 v[103:104], v[181:182], v[145:146]
	;; [unrolled: 1-line block ×5, first 2 shown]
	v_fma_f64 v[26:27], v[72:73], s[12:13], v[141:142]
	v_fma_f64 v[121:122], v[72:73], s[18:19], -v[171:172]
	v_fma_f64 v[131:132], v[70:71], s[26:27], -v[84:85]
	v_fma_f64 v[84:85], v[70:71], s[26:27], v[84:85]
	v_mul_f64 v[137:138], v[64:65], s[10:11]
	v_add_f64 v[42:43], v[74:75], v[42:43]
	v_mul_f64 v[74:75], v[62:63], s[10:11]
	v_mul_f64 v[99:100], v[62:63], s[22:23]
	v_fma_f64 v[133:134], v[72:73], s[14:15], v[30:31]
	v_fma_f64 v[30:31], v[72:73], s[14:15], -v[30:31]
	v_add_f64 v[18:19], v[46:47], v[18:19]
	v_fma_f64 v[46:47], v[70:71], s[14:15], v[66:67]
	v_add_f64 v[16:17], v[44:45], v[16:17]
	v_fma_f64 v[66:67], v[70:71], s[14:15], -v[66:67]
	v_add_f64 v[28:29], v[28:29], v[80:81]
	v_add_f64 v[80:81], v[115:116], v[89:90]
	v_fma_f64 v[44:45], v[50:51], s[20:21], v[97:98]
	v_add_f64 v[32:33], v[111:112], v[32:33]
	v_fma_f64 v[111:112], v[72:73], s[12:13], -v[141:142]
	v_add_f64 v[101:102], v[109:110], v[101:102]
	v_add_f64 v[40:41], v[105:106], v[40:41]
	;; [unrolled: 1-line block ×4, first 2 shown]
	v_mul_f64 v[139:140], v[64:65], s[4:5]
	v_add_f64 v[91:92], v[117:118], v[91:92]
	v_fma_f64 v[117:118], v[72:73], s[18:19], v[171:172]
	v_add_f64 v[76:77], v[76:77], v[135:136]
	v_mul_f64 v[135:136], v[62:63], s[4:5]
	v_mul_f64 v[64:65], v[64:65], s[0:1]
	;; [unrolled: 1-line block ×3, first 2 shown]
	v_fma_f64 v[105:106], v[50:51], s[26:27], v[68:69]
	v_fma_f64 v[72:73], v[48:49], s[26:27], -v[95:96]
	v_add_f64 v[26:27], v[26:27], v[36:37]
	v_add_f64 v[89:90], v[119:120], v[103:104]
	;; [unrolled: 1-line block ×3, first 2 shown]
	v_fma_f64 v[123:124], v[48:49], s[16:17], v[129:130]
	v_fma_f64 v[113:114], v[50:51], s[18:19], -v[137:138]
	v_fma_f64 v[97:98], v[50:51], s[20:21], -v[97:98]
	;; [unrolled: 1-line block ×3, first 2 shown]
	v_fma_f64 v[74:75], v[48:49], s[18:19], v[74:75]
	v_fma_f64 v[70:71], v[48:49], s[20:21], -v[99:100]
	v_fma_f64 v[99:100], v[48:49], s[20:21], v[99:100]
	v_add_f64 v[87:88], v[165:166], v[87:88]
	v_fma_f64 v[68:69], v[50:51], s[26:27], -v[68:69]
	v_fma_f64 v[95:96], v[48:49], s[26:27], v[95:96]
	v_fma_f64 v[129:130], v[48:49], s[16:17], -v[129:130]
	v_add_f64 v[109:110], v[10:11], v[6:7]
	v_add_f64 v[141:142], v[8:9], v[4:5]
	;; [unrolled: 1-line block ×4, first 2 shown]
	v_fma_f64 v[119:120], v[50:51], s[14:15], -v[139:140]
	v_add_f64 v[82:83], v[117:118], v[93:94]
	v_add_f64 v[93:94], v[121:122], v[107:108]
	;; [unrolled: 1-line block ×5, first 2 shown]
	v_fma_f64 v[121:122], v[50:51], s[16:17], -v[125:126]
	v_fma_f64 v[20:21], v[50:51], s[18:19], v[137:138]
	v_fma_f64 v[127:128], v[48:49], s[14:15], v[135:136]
	;; [unrolled: 1-line block ×3, first 2 shown]
	v_fma_f64 v[131:132], v[48:49], s[14:15], -v[135:136]
	v_fma_f64 v[125:126], v[50:51], s[16:17], v[125:126]
	v_add_f64 v[84:85], v[133:134], v[22:23]
	v_fma_f64 v[133:134], v[50:51], s[12:13], v[64:65]
	v_fma_f64 v[50:51], v[50:51], s[12:13], -v[64:65]
	v_add_f64 v[64:65], v[30:31], v[18:19]
	v_fma_f64 v[135:136], v[48:49], s[12:13], v[62:63]
	v_add_f64 v[137:138], v[46:47], v[16:17]
	v_fma_f64 v[62:63], v[48:49], s[12:13], -v[62:63]
	v_add_f64 v[66:67], v[66:67], v[76:77]
	v_add_f64 v[6:7], v[105:106], v[34:35]
	;; [unrolled: 1-line block ×27, first 2 shown]
	ds_store_b128 v55, v[32:35] offset:32
	ds_store_b128 v55, v[28:31] offset:48
	;; [unrolled: 1-line block ×11, first 2 shown]
	ds_store_b128 v55, v[0:3]
	ds_store_b128 v55, v[44:47] offset:192
.LBB0_21:
	s_or_b32 exec_lo, exec_lo, s33
	v_and_b32_e32 v0, 0xff, v54
	v_add_nc_u16 v1, v54, 52
	v_add_nc_u16 v3, v54, 0x68
	s_waitcnt lgkmcnt(0)
	s_barrier
	v_mul_lo_u16 v0, 0x4f, v0
	v_and_b32_e32 v2, 0xff, v1
	buffer_gl0_inv
	s_mov_b32 s0, 0xe8584caa
	s_mov_b32 s1, 0xbfebb67a
	v_lshrrev_b16 v55, 10, v0
	v_mul_lo_u16 v0, 0x4f, v2
	v_and_b32_e32 v2, 0xff, v3
	s_mov_b32 s5, 0x3febb67a
	s_mov_b32 s4, s0
	v_mul_lo_u16 v4, v55, 13
	v_lshrrev_b16 v105, 10, v0
	v_mul_lo_u16 v0, 0x4f, v2
	s_delay_alu instid0(VALU_DEP_3) | instskip(NEXT) | instid1(VALU_DEP_3)
	v_sub_nc_u16 v2, v54, v4
	v_mul_lo_u16 v4, v105, 13
	s_delay_alu instid0(VALU_DEP_3) | instskip(NEXT) | instid1(VALU_DEP_3)
	v_lshrrev_b16 v106, 10, v0
	v_and_b32_e32 v107, 0xff, v2
	s_delay_alu instid0(VALU_DEP_3) | instskip(NEXT) | instid1(VALU_DEP_3)
	v_sub_nc_u16 v0, v1, v4
	v_mul_lo_u16 v1, v106, 13
	s_delay_alu instid0(VALU_DEP_3) | instskip(NEXT) | instid1(VALU_DEP_3)
	v_mul_u32_u24_e32 v2, 3, v107
	v_and_b32_e32 v108, 0xff, v0
	s_delay_alu instid0(VALU_DEP_3) | instskip(NEXT) | instid1(VALU_DEP_3)
	v_sub_nc_u16 v0, v3, v1
	v_lshlrev_b32_e32 v8, 4, v2
	s_delay_alu instid0(VALU_DEP_3) | instskip(NEXT) | instid1(VALU_DEP_3)
	v_mul_u32_u24_e32 v9, 3, v108
	v_and_b32_e32 v109, 0xff, v0
	s_clause 0x1
	global_load_b128 v[0:3], v8, s[8:9] offset:16
	global_load_b128 v[4:7], v8, s[8:9]
	v_lshlrev_b32_e32 v20, 4, v9
	v_mul_u32_u24_e32 v16, 3, v109
	s_clause 0x1
	global_load_b128 v[8:11], v8, s[8:9] offset:32
	global_load_b128 v[12:15], v20, s[8:9]
	v_lshlrev_b32_e32 v32, 4, v16
	s_clause 0x4
	global_load_b128 v[16:19], v20, s[8:9] offset:16
	global_load_b128 v[20:23], v20, s[8:9] offset:32
	global_load_b128 v[24:27], v32, s[8:9]
	global_load_b128 v[28:31], v32, s[8:9] offset:16
	global_load_b128 v[32:35], v32, s[8:9] offset:32
	ds_load_b128 v[36:39], v86 offset:2496
	ds_load_b128 v[40:43], v86 offset:4992
	;; [unrolled: 1-line block ×10, first 2 shown]
	s_waitcnt vmcnt(8) lgkmcnt(8)
	v_mul_f64 v[89:90], v[42:43], v[2:3]
	s_waitcnt vmcnt(7)
	v_mul_f64 v[87:88], v[38:39], v[6:7]
	v_mul_f64 v[6:7], v[36:37], v[6:7]
	v_mul_f64 v[2:3], v[40:41], v[2:3]
	s_waitcnt vmcnt(6) lgkmcnt(7)
	v_mul_f64 v[91:92], v[46:47], v[10:11]
	v_mul_f64 v[10:11], v[44:45], v[10:11]
	s_waitcnt vmcnt(5) lgkmcnt(6)
	v_mul_f64 v[93:94], v[50:51], v[14:15]
	v_mul_f64 v[14:15], v[48:49], v[14:15]
	;; [unrolled: 3-line block ×7, first 2 shown]
	v_fma_f64 v[40:41], v[40:41], v[0:1], v[89:90]
	v_fma_f64 v[36:37], v[36:37], v[4:5], v[87:88]
	v_fma_f64 v[38:39], v[38:39], v[4:5], -v[6:7]
	v_fma_f64 v[42:43], v[42:43], v[0:1], -v[2:3]
	ds_load_b128 v[0:3], v86
	ds_load_b128 v[4:7], v86 offset:832
	v_fma_f64 v[44:45], v[44:45], v[8:9], v[91:92]
	v_fma_f64 v[8:9], v[46:47], v[8:9], -v[10:11]
	v_fma_f64 v[10:11], v[48:49], v[12:13], v[93:94]
	v_fma_f64 v[12:13], v[50:51], v[12:13], -v[14:15]
	;; [unrolled: 2-line block ×7, first 2 shown]
	s_waitcnt lgkmcnt(0)
	s_barrier
	buffer_gl0_inv
	v_add_f64 v[34:35], v[0:1], -v[40:41]
	v_add_f64 v[40:41], v[2:3], -v[42:43]
	;; [unrolled: 1-line block ×12, first 2 shown]
	v_fma_f64 v[30:31], v[0:1], 2.0, -v[34:35]
	v_fma_f64 v[62:63], v[2:3], 2.0, -v[40:41]
	v_fma_f64 v[20:21], v[36:37], 2.0, -v[42:43]
	v_fma_f64 v[28:29], v[38:39], 2.0, -v[8:9]
	v_add_f64 v[0:1], v[34:35], v[8:9]
	v_add_f64 v[2:3], v[40:41], -v[42:43]
	v_fma_f64 v[38:39], v[4:5], 2.0, -v[44:45]
	v_fma_f64 v[64:65], v[6:7], 2.0, -v[46:47]
	v_fma_f64 v[32:33], v[10:11], 2.0, -v[14:15]
	v_fma_f64 v[36:37], v[12:13], 2.0, -v[16:17]
	v_add_f64 v[4:5], v[44:45], v[16:17]
	v_add_f64 v[6:7], v[46:47], -v[14:15]
	;; [unrolled: 6-line block ×3, first 2 shown]
	v_add_f64 v[8:9], v[30:31], -v[20:21]
	v_add_f64 v[10:11], v[62:63], -v[28:29]
	v_fma_f64 v[26:27], v[40:41], 2.0, -v[2:3]
	v_add_f64 v[16:17], v[38:39], -v[32:33]
	v_add_f64 v[18:19], v[64:65], -v[36:37]
	v_fma_f64 v[28:29], v[44:45], 2.0, -v[4:5]
	;; [unrolled: 3-line block ×3, first 2 shown]
	v_fma_f64 v[36:37], v[48:49], 2.0, -v[12:13]
	v_and_b32_e32 v48, 0xffff, v55
	v_and_b32_e32 v49, 0xffff, v105
	v_lshlrev_b32_e32 v55, 4, v107
	s_delay_alu instid0(VALU_DEP_3) | instskip(NEXT) | instid1(VALU_DEP_3)
	v_mul_u32_u24_e32 v48, 0x340, v48
	v_mul_u32_u24_e32 v49, 0x340, v49
	s_delay_alu instid0(VALU_DEP_2)
	v_add3_u32 v48, 0, v48, v55
	v_fma_f64 v[32:33], v[30:31], 2.0, -v[8:9]
	v_fma_f64 v[34:35], v[62:63], 2.0, -v[10:11]
	;; [unrolled: 1-line block ×3, first 2 shown]
	v_lshlrev_b32_e32 v62, 4, v108
	v_lshlrev_b32_e32 v63, 4, v109
	v_fma_f64 v[40:41], v[38:39], 2.0, -v[16:17]
	v_fma_f64 v[42:43], v[64:65], 2.0, -v[18:19]
	;; [unrolled: 1-line block ×3, first 2 shown]
	v_and_b32_e32 v50, 0xffff, v106
	v_mul_u32_u24_e32 v51, 5, v54
	v_add3_u32 v49, 0, v49, v62
	v_fma_f64 v[44:45], v[66:67], 2.0, -v[20:21]
	v_fma_f64 v[46:47], v[68:69], 2.0, -v[22:23]
	v_mul_u32_u24_e32 v50, 0x340, v50
	v_lshlrev_b32_e32 v51, 4, v51
	s_delay_alu instid0(VALU_DEP_2)
	v_add3_u32 v50, 0, v50, v63
	ds_store_b128 v48, v[8:11] offset:416
	ds_store_b128 v48, v[0:3] offset:624
	ds_store_b128 v48, v[32:35]
	ds_store_b128 v48, v[24:27] offset:208
	ds_store_b128 v49, v[16:19] offset:416
	;; [unrolled: 1-line block ×3, first 2 shown]
	ds_store_b128 v49, v[40:43]
	ds_store_b128 v49, v[28:31] offset:208
	ds_store_b128 v50, v[44:47]
	ds_store_b128 v50, v[36:39] offset:208
	ds_store_b128 v50, v[20:23] offset:416
	;; [unrolled: 1-line block ×3, first 2 shown]
	s_waitcnt lgkmcnt(0)
	s_barrier
	buffer_gl0_inv
	s_clause 0x4
	global_load_b128 v[0:3], v51, s[8:9] offset:656
	global_load_b128 v[4:7], v51, s[8:9] offset:688
	;; [unrolled: 1-line block ×5, first 2 shown]
	ds_load_b128 v[20:23], v86 offset:4992
	ds_load_b128 v[24:27], v86 offset:8320
	;; [unrolled: 1-line block ×6, first 2 shown]
	s_waitcnt vmcnt(4) lgkmcnt(5)
	v_mul_f64 v[44:45], v[20:21], v[2:3]
	s_waitcnt vmcnt(3) lgkmcnt(4)
	v_mul_f64 v[46:47], v[24:25], v[6:7]
	s_waitcnt lgkmcnt(3)
	v_mul_f64 v[48:49], v[28:29], v[2:3]
	s_waitcnt lgkmcnt(2)
	v_mul_f64 v[50:51], v[32:33], v[6:7]
	s_waitcnt vmcnt(2) lgkmcnt(1)
	v_mul_f64 v[70:71], v[36:37], v[10:11]
	v_mul_f64 v[72:73], v[22:23], v[2:3]
	;; [unrolled: 1-line block ×3, first 2 shown]
	s_waitcnt lgkmcnt(0)
	v_mul_f64 v[76:77], v[40:41], v[10:11]
	v_mul_f64 v[2:3], v[30:31], v[2:3]
	;; [unrolled: 1-line block ×5, first 2 shown]
	v_fma_f64 v[22:23], v[22:23], v[0:1], -v[44:45]
	v_fma_f64 v[26:27], v[26:27], v[4:5], -v[46:47]
	;; [unrolled: 1-line block ×4, first 2 shown]
	ds_load_b128 v[44:47], v86 offset:3328
	ds_load_b128 v[48:51], v86 offset:6656
	;; [unrolled: 1-line block ×4, first 2 shown]
	v_fma_f64 v[20:21], v[20:21], v[0:1], v[72:73]
	v_fma_f64 v[24:25], v[24:25], v[4:5], v[74:75]
	v_fma_f64 v[38:39], v[38:39], v[8:9], -v[70:71]
	v_fma_f64 v[28:29], v[28:29], v[0:1], v[2:3]
	v_fma_f64 v[32:33], v[32:33], v[4:5], v[6:7]
	v_fma_f64 v[42:43], v[42:43], v[8:9], -v[76:77]
	v_fma_f64 v[36:37], v[36:37], v[8:9], v[78:79]
	v_fma_f64 v[8:9], v[40:41], v[8:9], v[10:11]
	s_waitcnt vmcnt(1) lgkmcnt(3)
	v_mul_f64 v[80:81], v[46:47], v[14:15]
	v_mul_f64 v[82:83], v[44:45], v[14:15]
	s_waitcnt vmcnt(0) lgkmcnt(2)
	v_mul_f64 v[84:85], v[50:51], v[18:19]
	v_mul_f64 v[87:88], v[48:49], v[18:19]
	s_waitcnt lgkmcnt(1)
	v_mul_f64 v[72:73], v[64:65], v[14:15]
	v_mul_f64 v[14:15], v[62:63], v[14:15]
	s_waitcnt lgkmcnt(0)
	v_mul_f64 v[74:75], v[68:69], v[18:19]
	v_mul_f64 v[18:19], v[66:67], v[18:19]
	v_add_f64 v[70:71], v[22:23], v[26:27]
	v_add_f64 v[0:1], v[30:31], v[34:35]
	;; [unrolled: 1-line block ×3, first 2 shown]
	v_add_f64 v[4:5], v[20:21], -v[24:25]
	v_add_f64 v[10:11], v[28:29], v[32:33]
	v_add_f64 v[20:21], v[36:37], v[20:21]
	v_fma_f64 v[44:45], v[44:45], v[12:13], v[80:81]
	v_fma_f64 v[46:47], v[46:47], v[12:13], -v[82:83]
	v_fma_f64 v[48:49], v[48:49], v[16:17], v[84:85]
	v_fma_f64 v[50:51], v[50:51], v[16:17], -v[87:88]
	;; [unrolled: 2-line block ×4, first 2 shown]
	v_add_f64 v[18:19], v[28:29], -v[32:33]
	v_add_f64 v[68:69], v[22:23], -v[26:27]
	;; [unrolled: 1-line block ×3, first 2 shown]
	v_add_f64 v[22:23], v[38:39], v[22:23]
	v_fma_f64 v[6:7], v[70:71], -0.5, v[38:39]
	v_fma_f64 v[40:41], v[0:1], -0.5, v[42:43]
	;; [unrolled: 1-line block ×3, first 2 shown]
	ds_load_b128 v[0:3], v86
	v_fma_f64 v[10:11], v[10:11], -0.5, v[8:9]
	v_add_f64 v[8:9], v[8:9], v[28:29]
	v_add_f64 v[28:29], v[42:43], v[30:31]
	;; [unrolled: 1-line block ×5, first 2 shown]
	v_add_f64 v[84:85], v[46:47], -v[50:51]
	v_add_f64 v[76:77], v[62:63], v[14:15]
	v_add_f64 v[78:79], v[12:13], v[16:17]
	v_add_f64 v[38:39], v[12:13], -v[16:17]
	v_add_f64 v[22:23], v[22:23], v[26:27]
	v_fma_f64 v[72:73], v[4:5], s[4:5], v[6:7]
	v_fma_f64 v[74:75], v[4:5], s[0:1], v[6:7]
	ds_load_b128 v[4:7], v86 offset:832
	v_fma_f64 v[82:83], v[18:19], s[4:5], v[40:41]
	v_fma_f64 v[18:19], v[18:19], s[0:1], v[40:41]
	s_waitcnt lgkmcnt(1)
	v_add_f64 v[40:41], v[0:1], v[44:45]
	v_add_f64 v[46:47], v[2:3], v[46:47]
	v_add_f64 v[44:45], v[44:45], -v[48:49]
	v_fma_f64 v[30:31], v[68:69], s[0:1], v[70:71]
	v_fma_f64 v[42:43], v[68:69], s[4:5], v[70:71]
	v_add_f64 v[24:25], v[28:29], v[34:35]
	s_waitcnt lgkmcnt(0)
	s_barrier
	buffer_gl0_inv
	v_add_f64 v[36:37], v[4:5], v[62:63]
	v_add_f64 v[12:13], v[6:7], v[12:13]
	v_fma_f64 v[0:1], v[64:65], -0.5, v[0:1]
	v_fma_f64 v[2:3], v[66:67], -0.5, v[2:3]
	v_add_f64 v[62:63], v[62:63], -v[14:15]
	v_fma_f64 v[4:5], v[76:77], -0.5, v[4:5]
	v_fma_f64 v[6:7], v[78:79], -0.5, v[6:7]
	v_mul_f64 v[64:65], v[72:73], s[0:1]
	v_mul_f64 v[68:69], v[72:73], 0.5
	v_mul_f64 v[66:67], v[74:75], s[0:1]
	v_mul_f64 v[70:71], v[74:75], -0.5
	v_fma_f64 v[72:73], v[80:81], s[0:1], v[10:11]
	v_mul_f64 v[74:75], v[82:83], s[0:1]
	v_mul_f64 v[78:79], v[82:83], 0.5
	v_fma_f64 v[10:11], v[80:81], s[4:5], v[10:11]
	v_mul_f64 v[76:77], v[18:19], s[0:1]
	v_mul_f64 v[18:19], v[18:19], -0.5
	v_add_f64 v[40:41], v[40:41], v[48:49]
	v_add_f64 v[46:47], v[46:47], v[50:51]
	;; [unrolled: 1-line block ×5, first 2 shown]
	v_fma_f64 v[26:27], v[84:85], s[0:1], v[0:1]
	v_fma_f64 v[32:33], v[44:45], s[4:5], v[2:3]
	;; [unrolled: 1-line block ×6, first 2 shown]
	v_fma_f64 v[36:37], v[30:31], 0.5, v[64:65]
	v_fma_f64 v[30:31], v[30:31], s[4:5], v[68:69]
	v_fma_f64 v[44:45], v[42:43], -0.5, v[66:67]
	v_fma_f64 v[42:43], v[42:43], s[4:5], v[70:71]
	v_fma_f64 v[64:65], v[62:63], s[4:5], v[6:7]
	v_fma_f64 v[66:67], v[72:73], 0.5, v[74:75]
	v_fma_f64 v[70:71], v[72:73], s[4:5], v[78:79]
	v_fma_f64 v[62:63], v[62:63], s[0:1], v[6:7]
	v_fma_f64 v[68:69], v[10:11], -0.5, v[76:77]
	v_fma_f64 v[72:73], v[10:11], s[4:5], v[18:19]
	v_add_f64 v[0:1], v[40:41], v[20:21]
	v_add_f64 v[2:3], v[46:47], v[22:23]
	v_add_f64 v[4:5], v[40:41], -v[20:21]
	v_add_f64 v[6:7], v[46:47], -v[22:23]
	v_add_f64 v[10:11], v[16:17], v[24:25]
	v_add_f64 v[8:9], v[14:15], v[12:13]
	v_add_f64 v[12:13], v[14:15], -v[12:13]
	v_add_f64 v[14:15], v[16:17], -v[24:25]
	v_add_f64 v[16:17], v[26:27], v[36:37]
	v_add_f64 v[18:19], v[32:33], v[30:31]
	;; [unrolled: 1-line block ×4, first 2 shown]
	v_add_f64 v[24:25], v[26:27], -v[36:37]
	v_add_f64 v[26:27], v[32:33], -v[30:31]
	;; [unrolled: 1-line block ×4, first 2 shown]
	v_add_f64 v[32:33], v[48:49], v[66:67]
	v_add_f64 v[34:35], v[64:65], v[70:71]
	;; [unrolled: 1-line block ×4, first 2 shown]
	v_add_f64 v[40:41], v[48:49], -v[66:67]
	v_add_f64 v[42:43], v[64:65], -v[70:71]
	v_add_f64 v[44:45], v[50:51], -v[68:69]
	v_add_f64 v[46:47], v[62:63], -v[72:73]
	v_add_co_u32 v48, s0, s8, v58
	s_delay_alu instid0(VALU_DEP_1) | instskip(SKIP_1) | instid1(VALU_DEP_1)
	v_add_co_ci_u32_e64 v49, s0, s9, v59, s0
	v_add_co_u32 v55, s0, s8, v60
	v_add_co_ci_u32_e64 v58, s0, s9, v61, s0
	s_delay_alu instid0(VALU_DEP_4) | instskip(NEXT) | instid1(VALU_DEP_1)
	v_add_co_u32 v48, s0, 0x1000, v48
	v_add_co_ci_u32_e64 v49, s0, 0, v49, s0
	s_delay_alu instid0(VALU_DEP_4) | instskip(NEXT) | instid1(VALU_DEP_1)
	v_add_co_u32 v50, s0, 0x1000, v55
	v_add_co_ci_u32_e64 v51, s0, 0, v58, s0
	ds_store_b128 v86, v[0:3]
	ds_store_b128 v86, v[16:19] offset:832
	ds_store_b128 v86, v[20:23] offset:1664
	ds_store_b128 v86, v[4:7] offset:2496
	ds_store_b128 v86, v[24:27] offset:3328
	ds_store_b128 v86, v[28:31] offset:4160
	ds_store_b128 v86, v[8:11] offset:4992
	ds_store_b128 v86, v[32:35] offset:5824
	ds_store_b128 v86, v[36:39] offset:6656
	ds_store_b128 v86, v[12:15] offset:7488
	ds_store_b128 v86, v[40:43] offset:8320
	ds_store_b128 v86, v[44:47] offset:9152
	v_add_co_u32 v20, s0, 0x2000, v55
	s_waitcnt lgkmcnt(0)
	s_barrier
	buffer_gl0_inv
	s_clause 0x2
	global_load_b128 v[0:3], v[48:49], off offset:688
	global_load_b128 v[4:7], v[50:51], off offset:1520
	;; [unrolled: 1-line block ×3, first 2 shown]
	v_add_co_ci_u32_e64 v21, s0, 0, v58, s0
	s_clause 0x2
	global_load_b128 v[12:15], v[50:51], off offset:3184
	global_load_b128 v[16:19], v[50:51], off offset:4016
	;; [unrolled: 1-line block ×3, first 2 shown]
	ds_load_b128 v[24:27], v86 offset:4992
	ds_load_b128 v[28:31], v86 offset:5824
	;; [unrolled: 1-line block ×6, first 2 shown]
	s_waitcnt vmcnt(5) lgkmcnt(5)
	v_mul_f64 v[48:49], v[26:27], v[2:3]
	v_mul_f64 v[2:3], v[24:25], v[2:3]
	s_waitcnt vmcnt(4) lgkmcnt(4)
	v_mul_f64 v[50:51], v[30:31], v[6:7]
	v_mul_f64 v[6:7], v[28:29], v[6:7]
	;; [unrolled: 3-line block ×6, first 2 shown]
	v_fma_f64 v[24:25], v[24:25], v[0:1], v[48:49]
	v_fma_f64 v[26:27], v[26:27], v[0:1], -v[2:3]
	v_fma_f64 v[28:29], v[28:29], v[4:5], v[50:51]
	v_fma_f64 v[30:31], v[30:31], v[4:5], -v[6:7]
	;; [unrolled: 2-line block ×6, first 2 shown]
	ds_load_b128 v[0:3], v86
	ds_load_b128 v[4:7], v86 offset:832
	ds_load_b128 v[8:11], v86 offset:1664
	;; [unrolled: 1-line block ×5, first 2 shown]
	s_waitcnt lgkmcnt(0)
	s_barrier
	buffer_gl0_inv
	v_add_f64 v[24:25], v[0:1], -v[24:25]
	v_add_f64 v[26:27], v[2:3], -v[26:27]
	;; [unrolled: 1-line block ×12, first 2 shown]
	v_fma_f64 v[0:1], v[0:1], 2.0, -v[24:25]
	v_fma_f64 v[2:3], v[2:3], 2.0, -v[26:27]
	;; [unrolled: 1-line block ×12, first 2 shown]
	ds_store_b128 v86, v[24:27] offset:4992
	ds_store_b128 v86, v[28:31] offset:5824
	ds_store_b128 v86, v[32:35] offset:6656
	ds_store_b128 v86, v[36:39] offset:7488
	ds_store_b128 v86, v[40:43] offset:8320
	ds_store_b128 v86, v[44:47] offset:9152
	ds_store_b128 v86, v[0:3]
	ds_store_b128 v86, v[4:7] offset:832
	ds_store_b128 v86, v[8:11] offset:1664
	ds_store_b128 v86, v[12:15] offset:2496
	ds_store_b128 v86, v[16:19] offset:3328
	ds_store_b128 v86, v[20:23] offset:4160
	s_waitcnt lgkmcnt(0)
	s_barrier
	buffer_gl0_inv
	s_and_saveexec_b32 s0, vcc_lo
	s_cbranch_execz .LBB0_23
; %bb.22:
	v_mul_lo_u32 v2, s3, v56
	v_mul_lo_u32 v3, s2, v57
	v_mad_u64_u32 v[0:1], null, s2, v56, 0
	v_lshl_add_u32 v34, v54, 4, 0
	v_dual_mov_b32 v55, 0 :: v_dual_add_nc_u32 v12, 52, v54
	v_lshlrev_b64 v[8:9], 4, v[52:53]
	v_add_nc_u32_e32 v22, 0x104, v54
	s_delay_alu instid0(VALU_DEP_3) | instskip(SKIP_4) | instid1(VALU_DEP_4)
	v_dual_mov_b32 v25, v55 :: v_dual_add_nc_u32 v24, 0x138, v54
	v_add3_u32 v1, v1, v3, v2
	v_mov_b32_e32 v13, v55
	v_lshlrev_b64 v[14:15], 4, v[54:55]
	v_mov_b32_e32 v23, v55
	v_lshlrev_b64 v[10:11], 4, v[0:1]
	ds_load_b128 v[0:3], v34
	ds_load_b128 v[4:7], v34 offset:832
	v_lshlrev_b64 v[22:23], 4, v[22:23]
	v_add_co_u32 v10, vcc_lo, s6, v10
	v_add_co_ci_u32_e32 v11, vcc_lo, s7, v11, vcc_lo
	s_delay_alu instid0(VALU_DEP_2) | instskip(NEXT) | instid1(VALU_DEP_2)
	v_add_co_u32 v36, vcc_lo, v10, v8
	v_add_co_ci_u32_e32 v37, vcc_lo, v11, v9, vcc_lo
	v_lshlrev_b64 v[8:9], 4, v[12:13]
	v_add_nc_u32_e32 v12, 0x68, v54
	s_delay_alu instid0(VALU_DEP_4) | instskip(NEXT) | instid1(VALU_DEP_4)
	v_add_co_u32 v10, vcc_lo, v36, v14
	v_add_co_ci_u32_e32 v11, vcc_lo, v37, v15, vcc_lo
	s_delay_alu instid0(VALU_DEP_4)
	v_add_co_u32 v8, vcc_lo, v36, v8
	v_add_co_ci_u32_e32 v9, vcc_lo, v37, v9, vcc_lo
	s_waitcnt lgkmcnt(1)
	global_store_b128 v[10:11], v[0:3], off
	s_waitcnt lgkmcnt(0)
	global_store_b128 v[8:9], v[4:7], off
	v_lshlrev_b64 v[0:1], 4, v[12:13]
	v_dual_mov_b32 v9, v55 :: v_dual_add_nc_u32 v8, 0x9c, v54
	v_dual_mov_b32 v11, v55 :: v_dual_add_nc_u32 v10, 0xd0, v54
	s_delay_alu instid0(VALU_DEP_3) | instskip(NEXT) | instid1(VALU_DEP_4)
	v_add_co_u32 v16, vcc_lo, v36, v0
	v_add_co_ci_u32_e32 v17, vcc_lo, v37, v1, vcc_lo
	ds_load_b128 v[0:3], v34 offset:1664
	ds_load_b128 v[4:7], v34 offset:2496
	v_lshlrev_b64 v[18:19], 4, v[8:9]
	v_lshlrev_b64 v[20:21], 4, v[10:11]
	ds_load_b128 v[8:11], v34 offset:3328
	ds_load_b128 v[12:15], v34 offset:4160
	v_add_co_u32 v18, vcc_lo, v36, v18
	v_add_co_ci_u32_e32 v19, vcc_lo, v37, v19, vcc_lo
	v_add_co_u32 v20, vcc_lo, v36, v20
	v_add_co_ci_u32_e32 v21, vcc_lo, v37, v21, vcc_lo
	v_add_co_u32 v22, vcc_lo, v36, v22
	s_waitcnt lgkmcnt(3)
	global_store_b128 v[16:17], v[0:3], off
	s_waitcnt lgkmcnt(2)
	global_store_b128 v[18:19], v[4:7], off
	v_dual_mov_b32 v3, v55 :: v_dual_add_nc_u32 v2, 0x16c, v54
	v_add_co_ci_u32_e32 v23, vcc_lo, v37, v23, vcc_lo
	v_lshlrev_b64 v[0:1], 4, v[24:25]
	s_waitcnt lgkmcnt(1)
	global_store_b128 v[20:21], v[8:11], off
	s_waitcnt lgkmcnt(0)
	global_store_b128 v[22:23], v[12:15], off
	v_lshlrev_b64 v[8:9], 4, v[2:3]
	v_dual_mov_b32 v11, v55 :: v_dual_add_nc_u32 v10, 0x1a0, v54
	v_add_co_u32 v24, vcc_lo, v36, v0
	v_add_co_ci_u32_e32 v25, vcc_lo, v37, v1, vcc_lo
	s_delay_alu instid0(VALU_DEP_4)
	v_add_co_u32 v26, vcc_lo, v36, v8
	v_add_co_ci_u32_e32 v27, vcc_lo, v37, v9, vcc_lo
	v_lshlrev_b64 v[8:9], 4, v[10:11]
	v_dual_mov_b32 v17, v55 :: v_dual_add_nc_u32 v16, 0x1d4, v54
	v_dual_mov_b32 v19, v55 :: v_dual_add_nc_u32 v18, 0x208, v54
	ds_load_b128 v[0:3], v34 offset:4992
	ds_load_b128 v[4:7], v34 offset:5824
	v_add_co_u32 v28, vcc_lo, v36, v8
	v_add_co_ci_u32_e32 v29, vcc_lo, v37, v9, vcc_lo
	ds_load_b128 v[8:11], v34 offset:6656
	ds_load_b128 v[12:15], v34 offset:7488
	v_lshlrev_b64 v[30:31], 4, v[16:17]
	v_lshlrev_b64 v[32:33], 4, v[18:19]
	ds_load_b128 v[16:19], v34 offset:8320
	ds_load_b128 v[20:23], v34 offset:9152
	v_add_nc_u32_e32 v54, 0x23c, v54
	v_add_co_u32 v30, vcc_lo, v36, v30
	s_delay_alu instid0(VALU_DEP_2) | instskip(SKIP_3) | instid1(VALU_DEP_4)
	v_lshlrev_b64 v[34:35], 4, v[54:55]
	v_add_co_ci_u32_e32 v31, vcc_lo, v37, v31, vcc_lo
	v_add_co_u32 v32, vcc_lo, v36, v32
	v_add_co_ci_u32_e32 v33, vcc_lo, v37, v33, vcc_lo
	v_add_co_u32 v34, vcc_lo, v36, v34
	v_add_co_ci_u32_e32 v35, vcc_lo, v37, v35, vcc_lo
	s_waitcnt lgkmcnt(5)
	global_store_b128 v[24:25], v[0:3], off
	s_waitcnt lgkmcnt(4)
	global_store_b128 v[26:27], v[4:7], off
	;; [unrolled: 2-line block ×6, first 2 shown]
.LBB0_23:
	s_nop 0
	s_sendmsg sendmsg(MSG_DEALLOC_VGPRS)
	s_endpgm
	.section	.rodata,"a",@progbits
	.p2align	6, 0x0
	.amdhsa_kernel fft_rtc_back_len624_factors_13_4_6_2_wgs_52_tpt_52_dp_op_CI_CI_unitstride_sbrr_C2R_dirReg
		.amdhsa_group_segment_fixed_size 0
		.amdhsa_private_segment_fixed_size 0
		.amdhsa_kernarg_size 104
		.amdhsa_user_sgpr_count 15
		.amdhsa_user_sgpr_dispatch_ptr 0
		.amdhsa_user_sgpr_queue_ptr 0
		.amdhsa_user_sgpr_kernarg_segment_ptr 1
		.amdhsa_user_sgpr_dispatch_id 0
		.amdhsa_user_sgpr_private_segment_size 0
		.amdhsa_wavefront_size32 1
		.amdhsa_uses_dynamic_stack 0
		.amdhsa_enable_private_segment 0
		.amdhsa_system_sgpr_workgroup_id_x 1
		.amdhsa_system_sgpr_workgroup_id_y 0
		.amdhsa_system_sgpr_workgroup_id_z 0
		.amdhsa_system_sgpr_workgroup_info 0
		.amdhsa_system_vgpr_workitem_id 0
		.amdhsa_next_free_vgpr 213
		.amdhsa_next_free_sgpr 40
		.amdhsa_reserve_vcc 1
		.amdhsa_float_round_mode_32 0
		.amdhsa_float_round_mode_16_64 0
		.amdhsa_float_denorm_mode_32 3
		.amdhsa_float_denorm_mode_16_64 3
		.amdhsa_dx10_clamp 1
		.amdhsa_ieee_mode 1
		.amdhsa_fp16_overflow 0
		.amdhsa_workgroup_processor_mode 1
		.amdhsa_memory_ordered 1
		.amdhsa_forward_progress 0
		.amdhsa_shared_vgpr_count 0
		.amdhsa_exception_fp_ieee_invalid_op 0
		.amdhsa_exception_fp_denorm_src 0
		.amdhsa_exception_fp_ieee_div_zero 0
		.amdhsa_exception_fp_ieee_overflow 0
		.amdhsa_exception_fp_ieee_underflow 0
		.amdhsa_exception_fp_ieee_inexact 0
		.amdhsa_exception_int_div_zero 0
	.end_amdhsa_kernel
	.text
.Lfunc_end0:
	.size	fft_rtc_back_len624_factors_13_4_6_2_wgs_52_tpt_52_dp_op_CI_CI_unitstride_sbrr_C2R_dirReg, .Lfunc_end0-fft_rtc_back_len624_factors_13_4_6_2_wgs_52_tpt_52_dp_op_CI_CI_unitstride_sbrr_C2R_dirReg
                                        ; -- End function
	.section	.AMDGPU.csdata,"",@progbits
; Kernel info:
; codeLenInByte = 11228
; NumSgprs: 42
; NumVgprs: 213
; ScratchSize: 0
; MemoryBound: 0
; FloatMode: 240
; IeeeMode: 1
; LDSByteSize: 0 bytes/workgroup (compile time only)
; SGPRBlocks: 5
; VGPRBlocks: 26
; NumSGPRsForWavesPerEU: 42
; NumVGPRsForWavesPerEU: 213
; Occupancy: 7
; WaveLimiterHint : 1
; COMPUTE_PGM_RSRC2:SCRATCH_EN: 0
; COMPUTE_PGM_RSRC2:USER_SGPR: 15
; COMPUTE_PGM_RSRC2:TRAP_HANDLER: 0
; COMPUTE_PGM_RSRC2:TGID_X_EN: 1
; COMPUTE_PGM_RSRC2:TGID_Y_EN: 0
; COMPUTE_PGM_RSRC2:TGID_Z_EN: 0
; COMPUTE_PGM_RSRC2:TIDIG_COMP_CNT: 0
	.text
	.p2alignl 7, 3214868480
	.fill 96, 4, 3214868480
	.type	__hip_cuid_8e5206579e5063ac,@object ; @__hip_cuid_8e5206579e5063ac
	.section	.bss,"aw",@nobits
	.globl	__hip_cuid_8e5206579e5063ac
__hip_cuid_8e5206579e5063ac:
	.byte	0                               ; 0x0
	.size	__hip_cuid_8e5206579e5063ac, 1

	.ident	"AMD clang version 19.0.0git (https://github.com/RadeonOpenCompute/llvm-project roc-6.4.0 25133 c7fe45cf4b819c5991fe208aaa96edf142730f1d)"
	.section	".note.GNU-stack","",@progbits
	.addrsig
	.addrsig_sym __hip_cuid_8e5206579e5063ac
	.amdgpu_metadata
---
amdhsa.kernels:
  - .args:
      - .actual_access:  read_only
        .address_space:  global
        .offset:         0
        .size:           8
        .value_kind:     global_buffer
      - .offset:         8
        .size:           8
        .value_kind:     by_value
      - .actual_access:  read_only
        .address_space:  global
        .offset:         16
        .size:           8
        .value_kind:     global_buffer
      - .actual_access:  read_only
        .address_space:  global
        .offset:         24
        .size:           8
        .value_kind:     global_buffer
      - .actual_access:  read_only
        .address_space:  global
        .offset:         32
        .size:           8
        .value_kind:     global_buffer
      - .offset:         40
        .size:           8
        .value_kind:     by_value
      - .actual_access:  read_only
        .address_space:  global
        .offset:         48
        .size:           8
        .value_kind:     global_buffer
      - .actual_access:  read_only
        .address_space:  global
        .offset:         56
        .size:           8
        .value_kind:     global_buffer
      - .offset:         64
        .size:           4
        .value_kind:     by_value
      - .actual_access:  read_only
        .address_space:  global
        .offset:         72
        .size:           8
        .value_kind:     global_buffer
      - .actual_access:  read_only
        .address_space:  global
        .offset:         80
        .size:           8
        .value_kind:     global_buffer
      - .actual_access:  read_only
        .address_space:  global
        .offset:         88
        .size:           8
        .value_kind:     global_buffer
      - .actual_access:  write_only
        .address_space:  global
        .offset:         96
        .size:           8
        .value_kind:     global_buffer
    .group_segment_fixed_size: 0
    .kernarg_segment_align: 8
    .kernarg_segment_size: 104
    .language:       OpenCL C
    .language_version:
      - 2
      - 0
    .max_flat_workgroup_size: 52
    .name:           fft_rtc_back_len624_factors_13_4_6_2_wgs_52_tpt_52_dp_op_CI_CI_unitstride_sbrr_C2R_dirReg
    .private_segment_fixed_size: 0
    .sgpr_count:     42
    .sgpr_spill_count: 0
    .symbol:         fft_rtc_back_len624_factors_13_4_6_2_wgs_52_tpt_52_dp_op_CI_CI_unitstride_sbrr_C2R_dirReg.kd
    .uniform_work_group_size: 1
    .uses_dynamic_stack: false
    .vgpr_count:     213
    .vgpr_spill_count: 0
    .wavefront_size: 32
    .workgroup_processor_mode: 1
amdhsa.target:   amdgcn-amd-amdhsa--gfx1100
amdhsa.version:
  - 1
  - 2
...

	.end_amdgpu_metadata
